;; amdgpu-corpus repo=ROCm/rocFFT kind=compiled arch=gfx950 opt=O3
	.text
	.amdgcn_target "amdgcn-amd-amdhsa--gfx950"
	.amdhsa_code_object_version 6
	.protected	fft_rtc_fwd_len17_factors_17_wgs_120_tpt_1_sp_op_CI_CI_unitstride_sbrr_dirReg ; -- Begin function fft_rtc_fwd_len17_factors_17_wgs_120_tpt_1_sp_op_CI_CI_unitstride_sbrr_dirReg
	.globl	fft_rtc_fwd_len17_factors_17_wgs_120_tpt_1_sp_op_CI_CI_unitstride_sbrr_dirReg
	.p2align	8
	.type	fft_rtc_fwd_len17_factors_17_wgs_120_tpt_1_sp_op_CI_CI_unitstride_sbrr_dirReg,@function
fft_rtc_fwd_len17_factors_17_wgs_120_tpt_1_sp_op_CI_CI_unitstride_sbrr_dirReg: ; @fft_rtc_fwd_len17_factors_17_wgs_120_tpt_1_sp_op_CI_CI_unitstride_sbrr_dirReg
; %bb.0:
	s_load_dwordx4 s[4:7], s[0:1], 0x58
	s_load_dwordx2 s[12:13], s[0:1], 0x8
	s_load_dwordx4 s[8:11], s[0:1], 0x18
	s_mulk_i32 s2, 0x78
	v_add_u32_e32 v4, s2, v0
	v_mov_b32_e32 v2, 0
	s_waitcnt lgkmcnt(0)
	v_cmp_lt_u64_e64 s[2:3], s[12:13], 2
	v_mov_b32_e32 v5, v2
	s_and_b64 vcc, exec, s[2:3]
	v_mov_b64_e32 v[0:1], 0
	s_cbranch_vccnz .LBB0_8
; %bb.1:
	s_load_dwordx2 s[2:3], s[0:1], 0x10
	s_add_u32 s14, s10, 8
	s_addc_u32 s15, s11, 0
	s_add_u32 s16, s8, 8
	s_addc_u32 s17, s9, 0
	s_waitcnt lgkmcnt(0)
	s_add_u32 s18, s2, 8
	v_mov_b64_e32 v[0:1], 0
	s_addc_u32 s19, s3, 0
	s_mov_b64 s[20:21], 1
	v_mov_b64_e32 v[34:35], v[0:1]
.LBB0_2:                                ; =>This Inner Loop Header: Depth=1
	s_load_dwordx2 s[22:23], s[18:19], 0x0
                                        ; implicit-def: $vgpr36_vgpr37
	s_waitcnt lgkmcnt(0)
	v_or_b32_e32 v3, s23, v5
	v_cmp_ne_u64_e32 vcc, 0, v[2:3]
	s_and_saveexec_b64 s[2:3], vcc
	s_xor_b64 s[24:25], exec, s[2:3]
	s_cbranch_execz .LBB0_4
; %bb.3:                                ;   in Loop: Header=BB0_2 Depth=1
	v_cvt_f32_u32_e32 v3, s22
	v_cvt_f32_u32_e32 v6, s23
	s_sub_u32 s2, 0, s22
	s_subb_u32 s3, 0, s23
	v_fmac_f32_e32 v3, 0x4f800000, v6
	v_rcp_f32_e32 v3, v3
	s_nop 0
	v_mul_f32_e32 v3, 0x5f7ffffc, v3
	v_mul_f32_e32 v6, 0x2f800000, v3
	v_trunc_f32_e32 v6, v6
	v_fmac_f32_e32 v3, 0xcf800000, v6
	v_cvt_u32_f32_e32 v10, v6
	v_cvt_u32_f32_e32 v3, v3
	v_mul_lo_u32 v6, s2, v10
	v_mul_hi_u32 v8, s2, v3
	v_mul_lo_u32 v7, s3, v3
	v_add_u32_e32 v8, v8, v6
	v_mul_lo_u32 v11, s2, v3
	v_add_u32_e32 v12, v8, v7
	v_mul_hi_u32 v6, v3, v11
	v_mul_hi_u32 v9, v3, v12
	v_mul_lo_u32 v8, v3, v12
	v_mov_b32_e32 v7, v2
	v_lshl_add_u64 v[6:7], v[6:7], 0, v[8:9]
	v_mul_hi_u32 v9, v10, v11
	v_mul_lo_u32 v11, v10, v11
	v_add_co_u32_e32 v6, vcc, v6, v11
	v_mul_hi_u32 v8, v10, v12
	s_nop 0
	v_addc_co_u32_e32 v6, vcc, v7, v9, vcc
	v_mov_b32_e32 v7, v2
	s_nop 0
	v_addc_co_u32_e32 v9, vcc, 0, v8, vcc
	v_mul_lo_u32 v8, v10, v12
	v_lshl_add_u64 v[6:7], v[6:7], 0, v[8:9]
	v_add_co_u32_e32 v3, vcc, v3, v6
	v_mul_lo_u32 v8, s2, v3
	s_nop 0
	v_addc_co_u32_e32 v10, vcc, v10, v7, vcc
	v_mul_lo_u32 v6, s2, v10
	v_mul_hi_u32 v7, s2, v3
	v_add_u32_e32 v6, v7, v6
	v_mul_lo_u32 v7, s3, v3
	v_add_u32_e32 v11, v6, v7
	v_mul_hi_u32 v13, v10, v8
	v_mul_lo_u32 v14, v10, v8
	v_mul_hi_u32 v7, v3, v11
	v_mul_lo_u32 v6, v3, v11
	v_mul_hi_u32 v8, v3, v8
	v_mov_b32_e32 v9, v2
	v_lshl_add_u64 v[6:7], v[8:9], 0, v[6:7]
	v_add_co_u32_e32 v6, vcc, v6, v14
	v_mul_hi_u32 v12, v10, v11
	s_nop 0
	v_addc_co_u32_e32 v6, vcc, v7, v13, vcc
	v_mul_lo_u32 v8, v10, v11
	s_nop 0
	v_addc_co_u32_e32 v9, vcc, 0, v12, vcc
	v_mov_b32_e32 v7, v2
	v_lshl_add_u64 v[6:7], v[6:7], 0, v[8:9]
	v_add_co_u32_e32 v3, vcc, v3, v6
	v_mul_hi_u32 v8, v4, v3
	s_nop 0
	v_addc_co_u32_e32 v10, vcc, v10, v7, vcc
	v_mad_u64_u32 v[6:7], s[2:3], v4, v10, 0
	v_mov_b32_e32 v9, v2
	v_lshl_add_u64 v[6:7], v[8:9], 0, v[6:7]
	v_mad_u64_u32 v[8:9], s[2:3], v5, v10, 0
	v_mad_u64_u32 v[10:11], s[2:3], v5, v3, 0
	v_add_co_u32_e32 v3, vcc, v6, v10
	s_nop 1
	v_addc_co_u32_e32 v6, vcc, v7, v11, vcc
	v_mov_b32_e32 v7, v2
	s_nop 0
	v_addc_co_u32_e32 v9, vcc, 0, v9, vcc
	v_lshl_add_u64 v[6:7], v[6:7], 0, v[8:9]
	v_mul_lo_u32 v3, s23, v6
	v_mul_lo_u32 v10, s22, v7
	v_mad_u64_u32 v[8:9], s[2:3], s22, v6, 0
	v_add3_u32 v3, v9, v10, v3
	v_sub_u32_e32 v9, v5, v3
	v_mov_b32_e32 v10, s23
	v_sub_co_u32_e32 v12, vcc, v4, v8
	s_nop 1
	v_subb_co_u32_e64 v8, s[2:3], v9, v10, vcc
	v_subrev_co_u32_e64 v9, s[2:3], s22, v12
	v_subb_co_u32_e32 v3, vcc, v5, v3, vcc
	s_nop 0
	v_subbrev_co_u32_e64 v8, s[2:3], 0, v8, s[2:3]
	v_cmp_le_u32_e64 s[2:3], s23, v8
	v_cmp_le_u32_e32 vcc, s23, v3
	s_nop 0
	v_cndmask_b32_e64 v10, 0, -1, s[2:3]
	v_cmp_le_u32_e64 s[2:3], s22, v9
	s_nop 1
	v_cndmask_b32_e64 v9, 0, -1, s[2:3]
	v_cmp_eq_u32_e64 s[2:3], s23, v8
	s_nop 1
	v_cndmask_b32_e64 v13, v10, v9, s[2:3]
	v_lshl_add_u64 v[8:9], v[6:7], 0, 2
	v_lshl_add_u64 v[10:11], v[6:7], 0, 1
	v_cmp_ne_u32_e64 s[2:3], 0, v13
	s_nop 1
	v_cndmask_b32_e64 v9, v11, v9, s[2:3]
	v_cndmask_b32_e64 v11, 0, -1, vcc
	v_cmp_le_u32_e32 vcc, s22, v12
	s_nop 1
	v_cndmask_b32_e64 v12, 0, -1, vcc
	v_cmp_eq_u32_e32 vcc, s23, v3
	s_nop 1
	v_cndmask_b32_e32 v3, v11, v12, vcc
	v_cmp_ne_u32_e32 vcc, 0, v3
	v_cndmask_b32_e64 v3, v10, v8, s[2:3]
	s_nop 0
	v_cndmask_b32_e32 v37, v7, v9, vcc
	v_cndmask_b32_e32 v36, v6, v3, vcc
.LBB0_4:                                ;   in Loop: Header=BB0_2 Depth=1
	s_andn2_saveexec_b64 s[2:3], s[24:25]
	s_cbranch_execz .LBB0_6
; %bb.5:                                ;   in Loop: Header=BB0_2 Depth=1
	v_cvt_f32_u32_e32 v3, s22
	s_sub_i32 s24, 0, s22
	v_mov_b32_e32 v37, v2
	v_rcp_iflag_f32_e32 v3, v3
	s_nop 0
	v_mul_f32_e32 v3, 0x4f7ffffe, v3
	v_cvt_u32_f32_e32 v3, v3
	v_mul_lo_u32 v6, s24, v3
	v_mul_hi_u32 v6, v3, v6
	v_add_u32_e32 v3, v3, v6
	v_mul_hi_u32 v3, v4, v3
	v_mul_lo_u32 v6, v3, s22
	v_sub_u32_e32 v6, v4, v6
	v_add_u32_e32 v7, 1, v3
	v_subrev_u32_e32 v8, s22, v6
	v_cmp_le_u32_e32 vcc, s22, v6
	s_nop 1
	v_cndmask_b32_e32 v6, v6, v8, vcc
	v_cndmask_b32_e32 v3, v3, v7, vcc
	v_add_u32_e32 v7, 1, v3
	v_cmp_le_u32_e32 vcc, s22, v6
	s_nop 1
	v_cndmask_b32_e32 v36, v3, v7, vcc
.LBB0_6:                                ;   in Loop: Header=BB0_2 Depth=1
	s_or_b64 exec, exec, s[2:3]
	v_mad_u64_u32 v[6:7], s[2:3], v36, s22, 0
	s_load_dwordx2 s[2:3], s[16:17], 0x0
	v_mul_lo_u32 v3, v37, s22
	v_mul_lo_u32 v8, v36, s23
	s_load_dwordx2 s[22:23], s[14:15], 0x0
	s_add_u32 s20, s20, 1
	v_add3_u32 v3, v7, v8, v3
	v_sub_co_u32_e32 v4, vcc, v4, v6
	s_addc_u32 s21, s21, 0
	s_nop 0
	v_subb_co_u32_e32 v3, vcc, v5, v3, vcc
	s_add_u32 s14, s14, 8
	s_waitcnt lgkmcnt(0)
	v_mul_lo_u32 v5, s2, v3
	v_mul_lo_u32 v6, s3, v4
	v_mad_u64_u32 v[0:1], s[2:3], s2, v4, v[0:1]
	s_addc_u32 s15, s15, 0
	v_add3_u32 v1, v6, v1, v5
	v_mul_lo_u32 v3, s22, v3
	v_mul_lo_u32 v5, s23, v4
	v_mad_u64_u32 v[34:35], s[2:3], s22, v4, v[34:35]
	s_add_u32 s16, s16, 8
	v_add3_u32 v35, v5, v35, v3
	s_addc_u32 s17, s17, 0
	v_mov_b64_e32 v[4:5], s[12:13]
	s_add_u32 s18, s18, 8
	v_cmp_ge_u64_e32 vcc, s[20:21], v[4:5]
	s_addc_u32 s19, s19, 0
	s_cbranch_vccnz .LBB0_9
; %bb.7:                                ;   in Loop: Header=BB0_2 Depth=1
	v_mov_b64_e32 v[4:5], v[36:37]
	s_branch .LBB0_2
.LBB0_8:
	v_mov_b64_e32 v[34:35], v[0:1]
	v_mov_b64_e32 v[36:37], v[4:5]
.LBB0_9:
	s_load_dwordx2 s[0:1], s[0:1], 0x28
	s_lshl_b64 s[2:3], s[12:13], 3
	s_add_u32 s22, s10, s2
	s_addc_u32 s23, s11, s3
	v_mov_b64_e32 v[32:33], 0
	s_waitcnt lgkmcnt(0)
	v_cmp_gt_u64_e32 vcc, s[0:1], v[36:37]
                                        ; implicit-def: $vgpr2
                                        ; implicit-def: $vgpr6
                                        ; implicit-def: $vgpr10
                                        ; implicit-def: $vgpr22
                                        ; implicit-def: $vgpr26
                                        ; implicit-def: $vgpr14
                                        ; implicit-def: $vgpr18
                                        ; implicit-def: $vgpr30
	s_and_saveexec_b64 s[0:1], vcc
	s_cbranch_execnz .LBB0_12
; %bb.10:
	s_or_b64 exec, exec, s[0:1]
	s_and_saveexec_b64 s[0:1], vcc
	s_cbranch_execnz .LBB0_13
.LBB0_11:
	s_endpgm
.LBB0_12:
	s_add_u32 s2, s8, s2
	s_addc_u32 s3, s9, s3
	s_load_dwordx2 s[2:3], s[2:3], 0x0
	s_waitcnt lgkmcnt(0)
	v_mul_lo_u32 v4, s3, v36
	v_mul_lo_u32 v5, s2, v37
	v_mad_u64_u32 v[2:3], s[2:3], s2, v36, 0
	v_add3_u32 v3, v3, v5, v4
	v_lshl_add_u64 v[2:3], v[2:3], 3, s[4:5]
	v_lshl_add_u64 v[38:39], v[0:1], 3, v[2:3]
	global_load_dwordx4 v[12:15], v[38:39], off offset:40
	global_load_dwordx4 v[16:19], v[38:39], off offset:24
	global_load_dwordx2 v[32:33], v[38:39], off
	global_load_dwordx4 v[28:31], v[38:39], off offset:8
	global_load_dwordx4 v[0:3], v[38:39], off offset:120
	;; [unrolled: 1-line block ×6, first 2 shown]
	s_or_b64 exec, exec, s[0:1]
	s_and_saveexec_b64 s[0:1], vcc
	s_cbranch_execz .LBB0_11
.LBB0_13:
	s_waitcnt vmcnt(4)
	v_pk_add_f32 v[82:83], v[28:29], v[2:3] neg_lo:[0,1] neg_hi:[0,1]
	v_pk_add_f32 v[80:81], v[28:29], v[2:3]
	v_pk_add_f32 v[28:29], v[28:29], v[32:33]
	s_waitcnt vmcnt(3)
	v_pk_add_f32 v[70:71], v[16:17], v[6:7] neg_lo:[0,1] neg_hi:[0,1]
	v_pk_add_f32 v[28:29], v[30:31], v[28:29]
	v_pk_add_f32 v[68:69], v[16:17], v[6:7]
	;; [unrolled: 1-line block ×3, first 2 shown]
	s_waitcnt vmcnt(2)
	v_pk_add_f32 v[58:59], v[12:13], v[10:11] neg_lo:[0,1] neg_hi:[0,1]
	v_pk_add_f32 v[16:17], v[18:19], v[16:17]
	v_pk_add_f32 v[56:57], v[12:13], v[10:11]
	;; [unrolled: 1-line block ×3, first 2 shown]
	s_mov_b32 s18, 0xbeb8f4ab
	v_pk_add_f32 v[12:13], v[14:15], v[12:13]
	v_pk_add_f32 v[78:79], v[30:31], v[0:1] neg_lo:[0,1] neg_hi:[0,1]
	s_waitcnt vmcnt(1)
	v_pk_add_f32 v[12:13], v[24:25], v[12:13]
	v_pk_add_f32 v[114:115], v[14:15], v[8:9] neg_lo:[0,1] neg_hi:[0,1]
	v_pk_add_f32 v[16:17], v[26:27], v[12:13]
	v_pk_add_f32 v[112:113], v[14:15], v[8:9]
	s_waitcnt vmcnt(0)
	v_pk_add_f32 v[16:17], v[20:21], v[16:17]
	s_mov_b32 s8, 0x3f6eb680
	v_pk_mul_f32 v[14:15], v[82:83], s[18:19] op_sel_hi:[1,0]
	v_pk_add_f32 v[16:17], v[22:23], v[16:17]
	s_mov_b32 s34, 0xbf2c7751
	v_pk_add_f32 v[76:77], v[30:31], v[0:1]
	v_pk_add_f32 v[66:67], v[18:19], v[4:5] neg_lo:[0,1] neg_hi:[0,1]
	v_pk_add_f32 v[60:61], v[18:19], v[4:5]
	v_pk_add_f32 v[106:107], v[26:27], v[20:21] neg_lo:[0,1] neg_hi:[0,1]
	v_pk_add_f32 v[100:101], v[26:27], v[20:21]
	v_pk_fma_f32 v[18:19], v[80:81], s[8:9], v[14:15] op_sel:[0,0,1] op_sel_hi:[1,0,0] neg_lo:[0,0,1] neg_hi:[0,0,1]
	v_pk_fma_f32 v[14:15], v[80:81], s[8:9], v[14:15] op_sel:[0,0,1] op_sel_hi:[1,0,0]
	s_mov_b32 s4, 0x3f3d2fb0
	v_pk_mul_f32 v[20:21], v[78:79], s[34:35] op_sel_hi:[1,0]
	v_pk_add_f32 v[8:9], v[8:9], v[16:17]
	v_accvgpr_write_b32 a1, v19
	v_mov_b32_e32 v19, v15
	v_pk_add_f32 v[16:17], v[10:11], v[8:9]
	v_pk_fma_f32 v[8:9], v[76:77], s[4:5], v[20:21] op_sel:[0,0,1] op_sel_hi:[1,0,0] neg_lo:[0,0,1] neg_hi:[0,0,1]
	v_pk_fma_f32 v[12:13], v[76:77], s[4:5], v[20:21] op_sel:[0,0,1] op_sel_hi:[1,0,0]
	v_pk_add_f32 v[18:19], v[18:19], v[32:33]
	v_mov_b32_e32 v20, v8
	v_mov_b32_e32 v21, v13
	s_mov_b32 s36, 0xbf65296c
	v_pk_add_f32 v[18:19], v[20:21], v[18:19]
	s_mov_b32 s2, 0x3ee437d1
	v_pk_mul_f32 v[20:21], v[70:71], s[36:37] op_sel_hi:[1,0]
	v_pk_add_f32 v[4:5], v[4:5], v[16:17]
	v_pk_fma_f32 v[16:17], v[68:69], s[2:3], v[20:21] op_sel:[0,0,1] op_sel_hi:[1,0,0] neg_lo:[0,0,1] neg_hi:[0,0,1]
	v_pk_fma_f32 v[10:11], v[68:69], s[2:3], v[20:21] op_sel:[0,0,1] op_sel_hi:[1,0,0]
	v_accvgpr_write_b32 a5, v17
	v_mov_b32_e32 v17, v11
	s_mov_b32 s30, 0xbf7ee86f
	v_pk_add_f32 v[20:21], v[16:17], v[18:19]
	s_mov_b32 s0, 0x3dbcf732
	v_pk_mul_f32 v[18:19], v[66:67], s[30:31] op_sel_hi:[1,0]
	v_pk_add_f32 v[110:111], v[24:25], v[22:23] neg_lo:[0,1] neg_hi:[0,1]
	v_pk_add_f32 v[108:109], v[24:25], v[22:23]
	v_pk_fma_f32 v[22:23], v[60:61], s[0:1], v[18:19] op_sel:[0,0,1] op_sel_hi:[1,0,0] neg_lo:[0,0,1] neg_hi:[0,0,1]
	v_pk_fma_f32 v[18:19], v[60:61], s[0:1], v[18:19] op_sel:[0,0,1] op_sel_hi:[1,0,0]
	v_accvgpr_write_b32 a7, v23
	v_mov_b32_e32 v23, v19
	s_mov_b32 s12, 0xbf763a35
	v_pk_add_f32 v[24:25], v[22:23], v[20:21]
	s_mov_b32 s10, 0xbe8c1d8e
	v_pk_mul_f32 v[22:23], v[58:59], s[12:13] op_sel_hi:[1,0]
	s_mov_b32 s16, 0xbf4c4adb
	v_pk_fma_f32 v[26:27], v[56:57], s[10:11], v[22:23] op_sel:[0,0,1] op_sel_hi:[1,0,0] neg_lo:[0,0,1] neg_hi:[0,0,1]
	v_pk_fma_f32 v[22:23], v[56:57], s[10:11], v[22:23] op_sel:[0,0,1] op_sel_hi:[1,0,0]
	v_accvgpr_write_b32 a9, v27
	v_mov_b32_e32 v27, v23
	s_load_dwordx2 s[22:23], s[22:23], 0x0
	v_pk_add_f32 v[28:29], v[26:27], v[24:25]
	s_mov_b32 s14, 0xbf1a4643
	v_pk_mul_f32 v[26:27], v[114:115], s[16:17] op_sel_hi:[1,0]
	v_pk_add_f32 v[38:39], v[6:7], v[4:5]
	v_pk_fma_f32 v[24:25], v[112:113], s[14:15], v[26:27] op_sel:[0,0,1] op_sel_hi:[1,0,0] neg_lo:[0,0,1] neg_hi:[0,0,1]
	v_pk_fma_f32 v[26:27], v[112:113], s[14:15], v[26:27] op_sel:[0,0,1] op_sel_hi:[1,0,0]
	v_mov_b32_e32 v30, v24
	v_mov_b32_e32 v31, v27
	s_mov_b32 s24, 0xbf06c442
	v_pk_add_f32 v[40:41], v[30:31], v[28:29]
	s_mov_b32 s20, 0xbf59a7d5
	v_pk_mul_f32 v[30:31], v[110:111], s[24:25] op_sel_hi:[1,0]
	v_pk_add_f32 v[0:1], v[0:1], v[38:39]
	s_mov_b32 s28, 0xbe3c28d5
	v_pk_fma_f32 v[28:29], v[108:109], s[20:21], v[30:31] op_sel:[0,0,1] op_sel_hi:[1,0,0] neg_lo:[0,0,1] neg_hi:[0,0,1]
	v_pk_fma_f32 v[30:31], v[108:109], s[20:21], v[30:31] op_sel:[0,0,1] op_sel_hi:[1,0,0]
	v_pk_add_f32 v[38:39], v[2:3], v[0:1]
	s_mov_b32 s26, 0xbf7ba420
	v_pk_mul_f32 v[2:3], v[106:107], s[28:29] op_sel_hi:[1,0]
	s_waitcnt lgkmcnt(0)
	v_mul_lo_u32 v0, s23, v36
	v_mul_lo_u32 v1, s22, v37
	v_mad_u64_u32 v[36:37], s[22:23], s22, v36, 0
	v_mov_b32_e32 v42, v28
	v_mov_b32_e32 v43, v31
	v_pk_fma_f32 v[20:21], v[100:101], s[26:27], v[2:3] op_sel:[0,0,1] op_sel_hi:[1,0,0] neg_lo:[0,0,1] neg_hi:[0,0,1]
	v_pk_fma_f32 v[16:17], v[100:101], s[26:27], v[2:3] op_sel:[0,0,1] op_sel_hi:[1,0,0]
	v_add3_u32 v37, v37, v1, v0
	v_pk_add_f32 v[40:41], v[42:43], v[40:41]
	v_mov_b32_e32 v42, v20
	v_mov_b32_e32 v43, v17
	v_lshl_add_u64 v[36:37], v[36:37], 3, s[6:7]
	v_pk_add_f32 v[40:41], v[42:43], v[40:41]
	v_lshl_add_u64 v[34:35], v[34:35], 3, v[36:37]
	v_pk_mul_f32 v[36:37], v[82:83], s[34:35] op_sel_hi:[1,0]
	global_store_dwordx4 v[34:35], v[38:41], off
	s_mov_b32 s42, 0x3f06c442
	s_mov_b32 s40, 0x3f763a35
	v_pk_fma_f32 v[38:39], v[80:81], s[4:5], v[36:37] op_sel:[0,0,1] op_sel_hi:[1,0,0] neg_lo:[0,0,1] neg_hi:[0,0,1]
	v_pk_fma_f32 v[36:37], v[80:81], s[4:5], v[36:37] op_sel:[0,0,1] op_sel_hi:[1,0,0]
	v_mov_b32_e32 v40, v38
	v_mov_b32_e32 v41, v37
	v_pk_add_f32 v[44:45], v[40:41], v[32:33]
	v_pk_mul_f32 v[40:41], v[78:79], s[30:31] op_sel_hi:[1,0]
	s_mov_b32 s6, 0x3f65296c
	v_pk_fma_f32 v[42:43], v[76:77], s[0:1], v[40:41] op_sel:[0,0,1] op_sel_hi:[1,0,0] neg_lo:[0,0,1] neg_hi:[0,0,1]
	v_pk_fma_f32 v[40:41], v[76:77], s[0:1], v[40:41] op_sel:[0,0,1] op_sel_hi:[1,0,0]
	v_mov_b32_e32 v46, v42
	v_mov_b32_e32 v47, v41
	v_pk_add_f32 v[48:49], v[46:47], v[44:45]
	v_pk_mul_f32 v[46:47], v[70:71], s[16:17] op_sel_hi:[1,0]
	;; [unrolled: 7-line block ×5, first 2 shown]
	v_pk_mul_f32 v[232:233], v[78:79], s[6:7] op_sel_hi:[1,0]
	v_pk_fma_f32 v[62:63], v[112:113], s[10:11], v[64:65] op_sel:[0,0,1] op_sel_hi:[1,0,0] neg_lo:[0,0,1] neg_hi:[0,0,1]
	v_pk_fma_f32 v[64:65], v[112:113], s[10:11], v[64:65] op_sel:[0,0,1] op_sel_hi:[1,0,0]
	v_mov_b32_e32 v74, v62
	v_mov_b32_e32 v75, v65
	v_pk_add_f32 v[84:85], v[74:75], v[72:73]
	v_pk_mul_f32 v[74:75], v[110:111], s[6:7] op_sel_hi:[1,0]
	v_pk_fma_f32 v[234:235], v[76:77], s[2:3], v[232:233] op_sel:[0,0,1] op_sel_hi:[1,0,0] neg_lo:[0,0,1] neg_hi:[0,0,1]
	v_pk_fma_f32 v[72:73], v[108:109], s[2:3], v[74:75] op_sel:[0,0,1] op_sel_hi:[1,0,0] neg_lo:[0,0,1] neg_hi:[0,0,1]
	v_pk_fma_f32 v[74:75], v[108:109], s[2:3], v[74:75] op_sel:[0,0,1] op_sel_hi:[1,0,0]
	v_mov_b32_e32 v86, v72
	v_mov_b32_e32 v87, v75
	v_pk_add_f32 v[120:121], v[86:87], v[84:85]
	v_pk_mul_f32 v[84:85], v[82:83], s[36:37] op_sel_hi:[1,0]
	v_pk_mul_f32 v[86:87], v[78:79], s[16:17] op_sel_hi:[1,0]
	v_pk_fma_f32 v[90:91], v[80:81], s[2:3], v[84:85] op_sel:[0,0,1] op_sel_hi:[1,0,0] neg_lo:[0,0,1] neg_hi:[0,0,1]
	v_pk_fma_f32 v[88:89], v[80:81], s[2:3], v[84:85] op_sel:[0,0,1] op_sel_hi:[1,0,0]
	v_mov_b32_e32 v84, v90
	v_mov_b32_e32 v85, v89
	v_pk_fma_f32 v[94:95], v[76:77], s[14:15], v[86:87] op_sel:[0,0,1] op_sel_hi:[1,0,0] neg_lo:[0,0,1] neg_hi:[0,0,1]
	v_pk_fma_f32 v[92:93], v[76:77], s[14:15], v[86:87] op_sel:[0,0,1] op_sel_hi:[1,0,0]
	v_pk_add_f32 v[84:85], v[84:85], v[32:33]
	v_mov_b32_e32 v86, v94
	v_mov_b32_e32 v87, v93
	v_pk_add_f32 v[84:85], v[86:87], v[84:85]
	v_pk_mul_f32 v[86:87], v[70:71], s[22:23] op_sel_hi:[1,0]
	s_mov_b32 s22, 0x3f2c7751
	v_pk_fma_f32 v[96:97], v[68:69], s[26:27], v[86:87] op_sel:[0,0,1] op_sel_hi:[1,0,0] neg_lo:[0,0,1] neg_hi:[0,0,1]
	v_pk_fma_f32 v[98:99], v[68:69], s[26:27], v[86:87] op_sel:[0,0,1] op_sel_hi:[1,0,0]
	v_mov_b32_e32 v86, v96
	v_mov_b32_e32 v87, v99
	v_pk_add_f32 v[84:85], v[86:87], v[84:85]
	v_pk_mul_f32 v[86:87], v[66:67], s[40:41] op_sel_hi:[1,0]
	v_pk_fma_f32 v[232:233], v[76:77], s[2:3], v[232:233] op_sel:[0,0,1] op_sel_hi:[1,0,0]
	v_pk_fma_f32 v[102:103], v[60:61], s[10:11], v[86:87] op_sel:[0,0,1] op_sel_hi:[1,0,0] neg_lo:[0,0,1] neg_hi:[0,0,1]
	v_pk_fma_f32 v[104:105], v[60:61], s[10:11], v[86:87] op_sel:[0,0,1] op_sel_hi:[1,0,0]
	v_mov_b32_e32 v86, v102
	v_mov_b32_e32 v87, v105
	v_pk_add_f32 v[84:85], v[86:87], v[84:85]
	v_pk_mul_f32 v[86:87], v[58:59], s[22:23] op_sel_hi:[1,0]
	v_mov_b32_e32 v236, v234
	v_pk_fma_f32 v[116:117], v[56:57], s[4:5], v[86:87] op_sel:[0,0,1] op_sel_hi:[1,0,0] neg_lo:[0,0,1] neg_hi:[0,0,1]
	v_pk_fma_f32 v[118:119], v[56:57], s[4:5], v[86:87] op_sel:[0,0,1] op_sel_hi:[1,0,0]
	v_mov_b32_e32 v86, v116
	v_mov_b32_e32 v87, v119
	v_pk_add_f32 v[84:85], v[86:87], v[84:85]
	v_pk_mul_f32 v[86:87], v[114:115], s[18:19] op_sel_hi:[1,0]
	v_mov_b32_e32 v237, v233
	v_pk_fma_f32 v[122:123], v[112:113], s[8:9], v[86:87] op_sel:[0,0,1] op_sel_hi:[1,0,0] neg_lo:[0,0,1] neg_hi:[0,0,1]
	v_pk_fma_f32 v[124:125], v[112:113], s[8:9], v[86:87] op_sel:[0,0,1] op_sel_hi:[1,0,0]
	v_mov_b32_e32 v86, v122
	v_mov_b32_e32 v87, v125
	v_pk_add_f32 v[84:85], v[86:87], v[84:85]
	v_pk_mul_f32 v[86:87], v[110:111], s[30:31] op_sel_hi:[1,0]
	v_accvgpr_write_b32 a3, v9
	v_pk_fma_f32 v[126:127], v[108:109], s[0:1], v[86:87] op_sel:[0,0,1] op_sel_hi:[1,0,0] neg_lo:[0,0,1] neg_hi:[0,0,1]
	v_pk_fma_f32 v[128:129], v[108:109], s[0:1], v[86:87] op_sel:[0,0,1] op_sel_hi:[1,0,0]
	v_mov_b32_e32 v86, v126
	v_mov_b32_e32 v87, v129
	v_pk_add_f32 v[134:135], v[86:87], v[84:85]
	v_pk_mul_f32 v[86:87], v[106:107], s[38:39] op_sel_hi:[1,0]
	v_mov_b32_e32 v233, v235
	v_pk_fma_f32 v[84:85], v[100:101], s[8:9], v[86:87] op_sel:[0,0,1] op_sel_hi:[1,0,0] neg_lo:[0,0,1] neg_hi:[0,0,1]
	v_pk_fma_f32 v[86:87], v[100:101], s[8:9], v[86:87] op_sel:[0,0,1] op_sel_hi:[1,0,0]
	v_mov_b32_e32 v130, v84
	v_mov_b32_e32 v131, v87
	v_pk_add_f32 v[132:133], v[130:131], v[120:121]
	v_pk_mul_f32 v[120:121], v[106:107], s[24:25] op_sel_hi:[1,0]
	v_mov_b32_e32 v89, v91
	v_pk_fma_f32 v[130:131], v[100:101], s[20:21], v[120:121] op_sel:[0,0,1] op_sel_hi:[1,0,0] neg_lo:[0,0,1] neg_hi:[0,0,1]
	v_pk_fma_f32 v[120:121], v[100:101], s[20:21], v[120:121] op_sel:[0,0,1] op_sel_hi:[1,0,0]
	v_mov_b32_e32 v136, v130
	v_mov_b32_e32 v137, v121
	v_pk_add_f32 v[134:135], v[136:137], v[134:135]
	global_store_dwordx4 v[34:35], v[132:135], off offset:16
	v_mov_b32_e32 v93, v95
	v_mov_b32_e32 v99, v97
	v_pk_mul_f32 v[132:133], v[82:83], s[30:31] op_sel_hi:[1,0]
	v_mov_b32_e32 v105, v103
	v_pk_fma_f32 v[134:135], v[80:81], s[0:1], v[132:133] op_sel:[0,0,1] op_sel_hi:[1,0,0] neg_lo:[0,0,1] neg_hi:[0,0,1]
	v_pk_fma_f32 v[132:133], v[80:81], s[0:1], v[132:133] op_sel:[0,0,1] op_sel_hi:[1,0,0]
	v_mov_b32_e32 v136, v134
	v_mov_b32_e32 v137, v133
	v_pk_add_f32 v[140:141], v[136:137], v[32:33]
	v_pk_mul_f32 v[136:137], v[78:79], s[28:29] op_sel_hi:[1,0]
	v_mov_b32_e32 v133, v135
	v_pk_fma_f32 v[138:139], v[76:77], s[26:27], v[136:137] op_sel:[0,0,1] op_sel_hi:[1,0,0] neg_lo:[0,0,1] neg_hi:[0,0,1]
	v_pk_fma_f32 v[136:137], v[76:77], s[26:27], v[136:137] op_sel:[0,0,1] op_sel_hi:[1,0,0]
	v_mov_b32_e32 v142, v138
	v_mov_b32_e32 v143, v137
	v_pk_add_f32 v[144:145], v[142:143], v[140:141]
	;; [unrolled: 7-line block ×7, first 2 shown]
	v_pk_mul_f32 v[160:161], v[82:83], s[12:13] op_sel_hi:[1,0]
	v_pk_mul_f32 v[162:163], v[78:79], s[42:43] op_sel_hi:[1,0]
	v_pk_fma_f32 v[166:167], v[80:81], s[10:11], v[160:161] op_sel:[0,0,1] op_sel_hi:[1,0,0] neg_lo:[0,0,1] neg_hi:[0,0,1]
	v_pk_fma_f32 v[164:165], v[80:81], s[10:11], v[160:161] op_sel:[0,0,1] op_sel_hi:[1,0,0]
	v_mov_b32_e32 v160, v166
	v_mov_b32_e32 v161, v165
	v_pk_fma_f32 v[172:173], v[76:77], s[20:21], v[162:163] op_sel:[0,0,1] op_sel_hi:[1,0,0] neg_lo:[0,0,1] neg_hi:[0,0,1]
	v_pk_fma_f32 v[170:171], v[76:77], s[20:21], v[162:163] op_sel:[0,0,1] op_sel_hi:[1,0,0]
	v_pk_add_f32 v[160:161], v[160:161], v[32:33]
	v_mov_b32_e32 v162, v172
	v_mov_b32_e32 v163, v171
	v_pk_add_f32 v[160:161], v[162:163], v[160:161]
	v_pk_mul_f32 v[162:163], v[70:71], s[22:23] op_sel_hi:[1,0]
	v_mov_b32_e32 v165, v167
	v_pk_fma_f32 v[174:175], v[68:69], s[4:5], v[162:163] op_sel:[0,0,1] op_sel_hi:[1,0,0] neg_lo:[0,0,1] neg_hi:[0,0,1]
	v_pk_fma_f32 v[176:177], v[68:69], s[4:5], v[162:163] op_sel:[0,0,1] op_sel_hi:[1,0,0]
	v_mov_b32_e32 v162, v174
	v_mov_b32_e32 v163, v177
	v_pk_add_f32 v[160:161], v[162:163], v[160:161]
	v_pk_mul_f32 v[162:163], v[66:67], s[36:37] op_sel_hi:[1,0]
	s_mov_b32 s36, 0x3f7ee86f
	v_pk_fma_f32 v[178:179], v[60:61], s[2:3], v[162:163] op_sel:[0,0,1] op_sel_hi:[1,0,0] neg_lo:[0,0,1] neg_hi:[0,0,1]
	v_pk_fma_f32 v[180:181], v[60:61], s[2:3], v[162:163] op_sel:[0,0,1] op_sel_hi:[1,0,0]
	v_mov_b32_e32 v162, v178
	v_mov_b32_e32 v163, v181
	v_pk_add_f32 v[160:161], v[162:163], v[160:161]
	v_pk_mul_f32 v[162:163], v[58:59], s[28:29] op_sel_hi:[1,0]
	v_mov_b32_e32 v171, v173
	v_pk_fma_f32 v[182:183], v[56:57], s[26:27], v[162:163] op_sel:[0,0,1] op_sel_hi:[1,0,0] neg_lo:[0,0,1] neg_hi:[0,0,1]
	v_pk_fma_f32 v[184:185], v[56:57], s[26:27], v[162:163] op_sel:[0,0,1] op_sel_hi:[1,0,0]
	v_mov_b32_e32 v162, v182
	v_mov_b32_e32 v163, v185
	v_pk_add_f32 v[160:161], v[162:163], v[160:161]
	v_pk_mul_f32 v[162:163], v[114:115], s[36:37] op_sel_hi:[1,0]
	v_mov_b32_e32 v177, v175
	;; [unrolled: 7-line block ×5, first 2 shown]
	v_pk_fma_f32 v[194:195], v[100:101], s[14:15], v[168:169] op_sel:[0,0,1] op_sel_hi:[1,0,0] neg_lo:[0,0,1] neg_hi:[0,0,1]
	v_pk_fma_f32 v[168:169], v[100:101], s[14:15], v[168:169] op_sel:[0,0,1] op_sel_hi:[1,0,0]
	v_mov_b32_e32 v200, v194
	v_mov_b32_e32 v201, v169
	v_pk_add_f32 v[198:199], v[200:201], v[198:199]
	global_store_dwordx4 v[34:35], v[196:199], off offset:32
	v_mov_b32_e32 v193, v191
	v_mov_b32_e32 v169, v195
	v_pk_mul_f32 v[196:197], v[82:83], s[16:17] op_sel_hi:[1,0]
	v_pk_mul_f32 v[198:199], v[78:79], s[40:41] op_sel_hi:[1,0]
	v_pk_fma_f32 v[200:201], v[80:81], s[14:15], v[196:197] op_sel:[0,0,1] op_sel_hi:[1,0,0] neg_lo:[0,0,1] neg_hi:[0,0,1]
	v_pk_fma_f32 v[202:203], v[80:81], s[14:15], v[196:197] op_sel:[0,0,1] op_sel_hi:[1,0,0]
	v_mov_b32_e32 v196, v200
	v_mov_b32_e32 v197, v203
	v_pk_fma_f32 v[204:205], v[76:77], s[10:11], v[198:199] op_sel:[0,0,1] op_sel_hi:[1,0,0] neg_lo:[0,0,1] neg_hi:[0,0,1]
	v_pk_fma_f32 v[206:207], v[76:77], s[10:11], v[198:199] op_sel:[0,0,1] op_sel_hi:[1,0,0]
	v_pk_add_f32 v[196:197], v[196:197], v[32:33]
	v_mov_b32_e32 v198, v204
	v_mov_b32_e32 v199, v207
	v_pk_add_f32 v[196:197], v[198:199], v[196:197]
	v_pk_mul_f32 v[198:199], v[70:71], s[18:19] op_sel_hi:[1,0]
	v_pk_mul_f32 v[78:79], v[78:79], s[38:39] op_sel_hi:[1,0]
	v_pk_fma_f32 v[208:209], v[68:69], s[8:9], v[198:199] op_sel:[0,0,1] op_sel_hi:[1,0,0] neg_lo:[0,0,1] neg_hi:[0,0,1]
	v_pk_fma_f32 v[210:211], v[68:69], s[8:9], v[198:199] op_sel:[0,0,1] op_sel_hi:[1,0,0]
	v_mov_b32_e32 v198, v208
	v_mov_b32_e32 v199, v211
	v_pk_add_f32 v[196:197], v[198:199], v[196:197]
	v_pk_mul_f32 v[198:199], v[66:67], s[24:25] op_sel_hi:[1,0]
	v_mov_b32_e32 v203, v201
	v_pk_fma_f32 v[212:213], v[60:61], s[20:21], v[198:199] op_sel:[0,0,1] op_sel_hi:[1,0,0] neg_lo:[0,0,1] neg_hi:[0,0,1]
	v_pk_fma_f32 v[214:215], v[60:61], s[20:21], v[198:199] op_sel:[0,0,1] op_sel_hi:[1,0,0]
	v_mov_b32_e32 v198, v212
	v_mov_b32_e32 v199, v215
	v_pk_add_f32 v[196:197], v[198:199], v[196:197]
	v_pk_mul_f32 v[198:199], v[58:59], s[36:37] op_sel_hi:[1,0]
	v_mov_b32_e32 v207, v205
	;; [unrolled: 7-line block ×5, first 2 shown]
	v_pk_fma_f32 v[228:229], v[80:81], s[20:21], v[198:199] op_sel:[0,0,1] op_sel_hi:[1,0,0] neg_lo:[0,0,1] neg_hi:[0,0,1]
	v_pk_fma_f32 v[230:231], v[80:81], s[20:21], v[198:199] op_sel:[0,0,1] op_sel_hi:[1,0,0]
	v_mov_b32_e32 v198, v228
	v_mov_b32_e32 v199, v231
	v_pk_add_f32 v[198:199], v[198:199], v[32:33]
	v_mov_b32_e32 v231, v229
	v_pk_add_f32 v[198:199], v[236:237], v[198:199]
	v_pk_mul_f32 v[236:237], v[70:71], s[30:31] op_sel_hi:[1,0]
	v_pk_mul_f32 v[70:71], v[70:71], s[24:25] op_sel_hi:[1,0]
	v_pk_fma_f32 v[238:239], v[68:69], s[0:1], v[236:237] op_sel:[0,0,1] op_sel_hi:[1,0,0] neg_lo:[0,0,1] neg_hi:[0,0,1]
	v_pk_fma_f32 v[236:237], v[68:69], s[0:1], v[236:237] op_sel:[0,0,1] op_sel_hi:[1,0,0]
	v_mov_b32_e32 v240, v238
	v_mov_b32_e32 v241, v237
	v_pk_add_f32 v[198:199], v[240:241], v[198:199]
	v_pk_mul_f32 v[240:241], v[66:67], s[44:45] op_sel_hi:[1,0]
	v_pk_mul_f32 v[66:67], v[66:67], s[22:23] op_sel_hi:[1,0]
	v_pk_fma_f32 v[242:243], v[60:61], s[14:15], v[240:241] op_sel:[0,0,1] op_sel_hi:[1,0,0] neg_lo:[0,0,1] neg_hi:[0,0,1]
	v_pk_fma_f32 v[240:241], v[60:61], s[14:15], v[240:241] op_sel:[0,0,1] op_sel_hi:[1,0,0]
	v_mov_b32_e32 v244, v242
	v_mov_b32_e32 v245, v241
	v_pk_add_f32 v[198:199], v[244:245], v[198:199]
	v_pk_mul_f32 v[244:245], v[58:59], s[18:19] op_sel_hi:[1,0]
	v_pk_mul_f32 v[58:59], v[58:59], s[16:17] op_sel_hi:[1,0]
	v_pk_fma_f32 v[246:247], v[56:57], s[8:9], v[244:245] op_sel:[0,0,1] op_sel_hi:[1,0,0] neg_lo:[0,0,1] neg_hi:[0,0,1]
	v_pk_fma_f32 v[244:245], v[56:57], s[8:9], v[244:245] op_sel:[0,0,1] op_sel_hi:[1,0,0]
	v_mov_b32_e32 v248, v246
	v_mov_b32_e32 v249, v245
	v_pk_add_f32 v[198:199], v[248:249], v[198:199]
	v_pk_mul_f32 v[248:249], v[114:115], s[28:29] op_sel_hi:[1,0]
	v_mov_b32_e32 v237, v239
	v_pk_fma_f32 v[250:251], v[112:113], s[26:27], v[248:249] op_sel:[0,0,1] op_sel_hi:[1,0,0] neg_lo:[0,0,1] neg_hi:[0,0,1]
	v_pk_fma_f32 v[248:249], v[112:113], s[26:27], v[248:249] op_sel:[0,0,1] op_sel_hi:[1,0,0]
	v_mov_b32_e32 v252, v250
	v_mov_b32_e32 v253, v249
	v_pk_add_f32 v[198:199], v[252:253], v[198:199]
	v_pk_mul_f32 v[252:253], v[110:111], s[22:23] op_sel_hi:[1,0]
	v_pk_mul_f32 v[110:111], v[110:111], s[12:13] op_sel_hi:[1,0]
	v_pk_fma_f32 v[6:7], v[108:109], s[4:5], v[252:253] op_sel:[0,0,1] op_sel_hi:[1,0,0] neg_lo:[0,0,1] neg_hi:[0,0,1]
	v_pk_fma_f32 v[252:253], v[108:109], s[4:5], v[252:253] op_sel:[0,0,1] op_sel_hi:[1,0,0]
	v_mov_b32_e32 v254, v6
	v_mov_b32_e32 v255, v253
	v_pk_add_f32 v[198:199], v[254:255], v[198:199]
	v_pk_mul_f32 v[254:255], v[106:107], s[6:7] op_sel_hi:[1,0]
	v_mov_b32_e32 v241, v243
	v_pk_fma_f32 v[8:9], v[100:101], s[2:3], v[254:255] op_sel:[0,0,1] op_sel_hi:[1,0,0] neg_lo:[0,0,1] neg_hi:[0,0,1]
	v_pk_fma_f32 v[254:255], v[100:101], s[2:3], v[254:255] op_sel:[0,0,1] op_sel_hi:[1,0,0]
	v_mov_b32_e32 v2, v8
	v_mov_b32_e32 v3, v255
	v_pk_add_f32 v[196:197], v[2:3], v[196:197]
	v_pk_mul_f32 v[2:3], v[106:107], s[12:13] op_sel_hi:[1,0]
	v_pk_mul_f32 v[106:107], v[106:107], s[36:37] op_sel_hi:[1,0]
	v_pk_fma_f32 v[4:5], v[100:101], s[10:11], v[2:3] op_sel:[0,0,1] op_sel_hi:[1,0,0] neg_lo:[0,0,1] neg_hi:[0,0,1]
	v_pk_fma_f32 v[2:3], v[100:101], s[10:11], v[2:3] op_sel:[0,0,1] op_sel_hi:[1,0,0]
	v_mov_b32_e32 v0, v4
	v_mov_b32_e32 v1, v3
	v_pk_add_f32 v[198:199], v[0:1], v[198:199]
	v_pk_mul_f32 v[0:1], v[82:83], s[28:29] op_sel_hi:[1,0]
	global_store_dwordx4 v[34:35], v[196:199], off offset:48
	v_pk_fma_f32 v[82:83], v[80:81], s[26:27], v[0:1] op_sel:[0,0,1] op_sel_hi:[1,0,0] neg_lo:[0,0,1] neg_hi:[0,0,1]
	v_pk_fma_f32 v[0:1], v[80:81], s[26:27], v[0:1] op_sel:[0,0,1] op_sel_hi:[1,0,0]
	v_pk_fma_f32 v[80:81], v[76:77], s[8:9], v[78:79] op_sel:[0,0,1] op_sel_hi:[1,0,0] neg_lo:[0,0,1] neg_hi:[0,0,1]
	v_pk_fma_f32 v[76:77], v[76:77], s[8:9], v[78:79] op_sel:[0,0,1] op_sel_hi:[1,0,0]
	v_mov_b32_e32 v78, v82
	v_mov_b32_e32 v79, v1
	v_pk_add_f32 v[78:79], v[78:79], v[32:33]
	v_mov_b32_e32 v196, v80
	v_mov_b32_e32 v197, v77
	v_pk_add_f32 v[78:79], v[196:197], v[78:79]
	v_pk_fma_f32 v[196:197], v[68:69], s[20:21], v[70:71] op_sel:[0,0,1] op_sel_hi:[1,0,0] neg_lo:[0,0,1] neg_hi:[0,0,1]
	v_pk_fma_f32 v[68:69], v[68:69], s[20:21], v[70:71] op_sel:[0,0,1] op_sel_hi:[1,0,0]
	v_mov_b32_e32 v70, v196
	v_mov_b32_e32 v71, v69
	v_pk_add_f32 v[70:71], v[70:71], v[78:79]
	v_pk_fma_f32 v[78:79], v[60:61], s[4:5], v[66:67] op_sel:[0,0,1] op_sel_hi:[1,0,0] neg_lo:[0,0,1] neg_hi:[0,0,1]
	v_pk_fma_f32 v[60:61], v[60:61], s[4:5], v[66:67] op_sel:[0,0,1] op_sel_hi:[1,0,0]
	;; [unrolled: 5-line block ×3, first 2 shown]
	v_mov_b32_e32 v58, v70
	v_mov_b32_e32 v59, v57
	v_mov_b32_e32 v1, v83
	v_pk_add_f32 v[58:59], v[58:59], v[66:67]
	v_pk_mul_f32 v[66:67], v[114:115], s[6:7] op_sel_hi:[1,0]
	v_mov_b32_e32 v77, v81
	v_pk_add_f32 v[0:1], v[0:1], v[32:33]
	v_pk_fma_f32 v[114:115], v[112:113], s[2:3], v[66:67] op_sel:[0,0,1] op_sel_hi:[1,0,0] neg_lo:[0,0,1] neg_hi:[0,0,1]
	v_pk_fma_f32 v[66:67], v[112:113], s[2:3], v[66:67] op_sel:[0,0,1] op_sel_hi:[1,0,0]
	v_pk_add_f32 v[0:1], v[76:77], v[0:1]
	v_mov_b32_e32 v69, v197
	v_mov_b32_e32 v112, v114
	;; [unrolled: 1-line block ×3, first 2 shown]
	v_pk_add_f32 v[0:1], v[68:69], v[0:1]
	v_mov_b32_e32 v61, v79
	v_pk_add_f32 v[58:59], v[112:113], v[58:59]
	v_pk_fma_f32 v[112:113], v[108:109], s[10:11], v[110:111] op_sel:[0,0,1] op_sel_hi:[1,0,0] neg_lo:[0,0,1] neg_hi:[0,0,1]
	v_pk_fma_f32 v[108:109], v[108:109], s[10:11], v[110:111] op_sel:[0,0,1] op_sel_hi:[1,0,0]
	v_pk_add_f32 v[0:1], v[60:61], v[0:1]
	v_mov_b32_e32 v57, v71
	v_mov_b32_e32 v110, v112
	;; [unrolled: 1-line block ×3, first 2 shown]
	v_pk_add_f32 v[0:1], v[56:57], v[0:1]
	v_mov_b32_e32 v67, v115
	v_pk_add_f32 v[58:59], v[110:111], v[58:59]
	v_pk_fma_f32 v[110:111], v[100:101], s[0:1], v[106:107] op_sel:[0,0,1] op_sel_hi:[1,0,0] neg_lo:[0,0,1] neg_hi:[0,0,1]
	v_pk_fma_f32 v[100:101], v[100:101], s[0:1], v[106:107] op_sel:[0,0,1] op_sel_hi:[1,0,0]
	v_pk_add_f32 v[0:1], v[66:67], v[0:1]
	v_mov_b32_e32 v109, v113
	v_pk_add_f32 v[0:1], v[108:109], v[0:1]
	v_mov_b32_e32 v56, v110
	v_mov_b32_e32 v57, v101
	;; [unrolled: 1-line block ×3, first 2 shown]
	v_pk_add_f32 v[56:57], v[56:57], v[58:59]
	v_pk_add_f32 v[58:59], v[100:101], v[0:1]
	;; [unrolled: 1-line block ×3, first 2 shown]
	v_mov_b32_e32 v245, v247
	v_pk_add_f32 v[0:1], v[232:233], v[0:1]
	v_mov_b32_e32 v249, v251
	v_pk_add_f32 v[0:1], v[236:237], v[0:1]
	;; [unrolled: 2-line block ×4, first 2 shown]
	v_pk_add_f32 v[4:5], v[202:203], v[32:33]
	v_pk_add_f32 v[0:1], v[248:249], v[0:1]
	global_store_dwordx4 v[34:35], v[56:59], off offset:64
	v_pk_add_f32 v[0:1], v[252:253], v[0:1]
	v_pk_add_f32 v[4:5], v[206:207], v[4:5]
	v_pk_add_f32 v[56:57], v[2:3], v[0:1]
	v_pk_add_f32 v[0:1], v[164:165], v[32:33]
	v_pk_add_f32 v[4:5], v[210:211], v[4:5]
	v_pk_add_f32 v[0:1], v[170:171], v[0:1]
	v_pk_add_f32 v[4:5], v[214:215], v[4:5]
	v_pk_add_f32 v[0:1], v[176:177], v[0:1]
	v_pk_add_f32 v[4:5], v[218:219], v[4:5]
	v_mov_b32_e32 v223, v221
	v_pk_add_f32 v[0:1], v[180:181], v[0:1]
	v_pk_add_f32 v[4:5], v[222:223], v[4:5]
	v_mov_b32_e32 v227, v225
	v_pk_add_f32 v[0:1], v[184:185], v[0:1]
	v_pk_add_f32 v[2:3], v[132:133], v[32:33]
	;; [unrolled: 1-line block ×3, first 2 shown]
	v_mov_b32_e32 v255, v9
	v_pk_add_f32 v[0:1], v[188:189], v[0:1]
	v_pk_add_f32 v[2:3], v[136:137], v[2:3]
	;; [unrolled: 1-line block ×5, first 2 shown]
	global_store_dwordx4 v[34:35], v[56:59], off offset:80
	v_pk_add_f32 v[2:3], v[146:147], v[2:3]
	v_mov_b32_e32 v159, v157
	v_pk_add_f32 v[56:57], v[168:169], v[0:1]
	v_pk_add_f32 v[0:1], v[88:89], v[32:33]
	;; [unrolled: 1-line block ×7, first 2 shown]
	v_mov_b32_e32 v161, v163
	v_pk_add_f32 v[0:1], v[104:105], v[0:1]
	v_mov_b32_e32 v119, v117
	v_mov_b32_e32 v37, v39
	v_pk_add_f32 v[58:59], v[160:161], v[2:3]
	v_pk_add_f32 v[0:1], v[118:119], v[0:1]
	v_mov_b32_e32 v125, v123
	v_mov_b32_e32 v41, v43
	v_pk_add_f32 v[2:3], v[36:37], v[32:33]
	v_pk_add_f32 v[0:1], v[124:125], v[0:1]
	v_mov_b32_e32 v129, v127
	v_pk_add_f32 v[2:3], v[40:41], v[2:3]
	v_mov_b32_e32 v47, v45
	;; [unrolled: 2-line block ×4, first 2 shown]
	v_pk_add_f32 v[36:37], v[120:121], v[0:1]
	v_pk_add_f32 v[0:1], v[48:49], v[2:3]
	v_mov_b32_e32 v55, v53
	v_pk_add_f32 v[0:1], v[54:55], v[0:1]
	v_mov_b32_e32 v65, v63
	;; [unrolled: 2-line block ×4, first 2 shown]
	v_accvgpr_read_b32 v15, a1
	v_pk_add_f32 v[38:39], v[86:87], v[0:1]
	v_pk_add_f32 v[0:1], v[14:15], v[32:33]
	v_accvgpr_read_b32 v13, a3
	v_pk_add_f32 v[0:1], v[12:13], v[0:1]
	v_accvgpr_read_b32 v11, a5
	;; [unrolled: 2-line block ×4, first 2 shown]
	v_pk_add_f32 v[0:1], v[22:23], v[0:1]
	v_mov_b32_e32 v27, v25
	v_pk_add_f32 v[0:1], v[26:27], v[0:1]
	v_mov_b32_e32 v31, v29
	;; [unrolled: 2-line block ×3, first 2 shown]
	v_pk_add_f32 v[0:1], v[16:17], v[0:1]
	global_store_dwordx4 v[34:35], v[56:59], off offset:96
	global_store_dwordx4 v[34:35], v[36:39], off offset:112
	global_store_dwordx2 v[34:35], v[0:1], off offset:128
	s_endpgm
	.section	.rodata,"a",@progbits
	.p2align	6, 0x0
	.amdhsa_kernel fft_rtc_fwd_len17_factors_17_wgs_120_tpt_1_sp_op_CI_CI_unitstride_sbrr_dirReg
		.amdhsa_group_segment_fixed_size 0
		.amdhsa_private_segment_fixed_size 0
		.amdhsa_kernarg_size 104
		.amdhsa_user_sgpr_count 2
		.amdhsa_user_sgpr_dispatch_ptr 0
		.amdhsa_user_sgpr_queue_ptr 0
		.amdhsa_user_sgpr_kernarg_segment_ptr 1
		.amdhsa_user_sgpr_dispatch_id 0
		.amdhsa_user_sgpr_kernarg_preload_length 0
		.amdhsa_user_sgpr_kernarg_preload_offset 0
		.amdhsa_user_sgpr_private_segment_size 0
		.amdhsa_uses_dynamic_stack 0
		.amdhsa_enable_private_segment 0
		.amdhsa_system_sgpr_workgroup_id_x 1
		.amdhsa_system_sgpr_workgroup_id_y 0
		.amdhsa_system_sgpr_workgroup_id_z 0
		.amdhsa_system_sgpr_workgroup_info 0
		.amdhsa_system_vgpr_workitem_id 0
		.amdhsa_next_free_vgpr 266
		.amdhsa_next_free_sgpr 46
		.amdhsa_accum_offset 256
		.amdhsa_reserve_vcc 1
		.amdhsa_float_round_mode_32 0
		.amdhsa_float_round_mode_16_64 0
		.amdhsa_float_denorm_mode_32 3
		.amdhsa_float_denorm_mode_16_64 3
		.amdhsa_dx10_clamp 1
		.amdhsa_ieee_mode 1
		.amdhsa_fp16_overflow 0
		.amdhsa_tg_split 0
		.amdhsa_exception_fp_ieee_invalid_op 0
		.amdhsa_exception_fp_denorm_src 0
		.amdhsa_exception_fp_ieee_div_zero 0
		.amdhsa_exception_fp_ieee_overflow 0
		.amdhsa_exception_fp_ieee_underflow 0
		.amdhsa_exception_fp_ieee_inexact 0
		.amdhsa_exception_int_div_zero 0
	.end_amdhsa_kernel
	.text
.Lfunc_end0:
	.size	fft_rtc_fwd_len17_factors_17_wgs_120_tpt_1_sp_op_CI_CI_unitstride_sbrr_dirReg, .Lfunc_end0-fft_rtc_fwd_len17_factors_17_wgs_120_tpt_1_sp_op_CI_CI_unitstride_sbrr_dirReg
                                        ; -- End function
	.section	.AMDGPU.csdata,"",@progbits
; Kernel info:
; codeLenInByte = 5328
; NumSgprs: 52
; NumVgprs: 256
; NumAgprs: 10
; TotalNumVgprs: 266
; ScratchSize: 0
; MemoryBound: 1
; FloatMode: 240
; IeeeMode: 1
; LDSByteSize: 0 bytes/workgroup (compile time only)
; SGPRBlocks: 6
; VGPRBlocks: 33
; NumSGPRsForWavesPerEU: 52
; NumVGPRsForWavesPerEU: 266
; AccumOffset: 256
; Occupancy: 1
; WaveLimiterHint : 1
; COMPUTE_PGM_RSRC2:SCRATCH_EN: 0
; COMPUTE_PGM_RSRC2:USER_SGPR: 2
; COMPUTE_PGM_RSRC2:TRAP_HANDLER: 0
; COMPUTE_PGM_RSRC2:TGID_X_EN: 1
; COMPUTE_PGM_RSRC2:TGID_Y_EN: 0
; COMPUTE_PGM_RSRC2:TGID_Z_EN: 0
; COMPUTE_PGM_RSRC2:TIDIG_COMP_CNT: 0
; COMPUTE_PGM_RSRC3_GFX90A:ACCUM_OFFSET: 63
; COMPUTE_PGM_RSRC3_GFX90A:TG_SPLIT: 0
	.text
	.p2alignl 6, 3212836864
	.fill 256, 4, 3212836864
	.type	__hip_cuid_7076565393fcb76f,@object ; @__hip_cuid_7076565393fcb76f
	.section	.bss,"aw",@nobits
	.globl	__hip_cuid_7076565393fcb76f
__hip_cuid_7076565393fcb76f:
	.byte	0                               ; 0x0
	.size	__hip_cuid_7076565393fcb76f, 1

	.ident	"AMD clang version 19.0.0git (https://github.com/RadeonOpenCompute/llvm-project roc-6.4.0 25133 c7fe45cf4b819c5991fe208aaa96edf142730f1d)"
	.section	".note.GNU-stack","",@progbits
	.addrsig
	.addrsig_sym __hip_cuid_7076565393fcb76f
	.amdgpu_metadata
---
amdhsa.kernels:
  - .agpr_count:     10
    .args:
      - .actual_access:  read_only
        .address_space:  global
        .offset:         0
        .size:           8
        .value_kind:     global_buffer
      - .offset:         8
        .size:           8
        .value_kind:     by_value
      - .actual_access:  read_only
        .address_space:  global
        .offset:         16
        .size:           8
        .value_kind:     global_buffer
      - .actual_access:  read_only
        .address_space:  global
        .offset:         24
        .size:           8
        .value_kind:     global_buffer
      - .actual_access:  read_only
        .address_space:  global
        .offset:         32
        .size:           8
        .value_kind:     global_buffer
      - .offset:         40
        .size:           8
        .value_kind:     by_value
      - .actual_access:  read_only
        .address_space:  global
        .offset:         48
        .size:           8
        .value_kind:     global_buffer
      - .actual_access:  read_only
        .address_space:  global
        .offset:         56
        .size:           8
        .value_kind:     global_buffer
      - .offset:         64
        .size:           4
        .value_kind:     by_value
      - .actual_access:  read_only
        .address_space:  global
        .offset:         72
        .size:           8
        .value_kind:     global_buffer
      - .actual_access:  read_only
        .address_space:  global
        .offset:         80
        .size:           8
        .value_kind:     global_buffer
      - .actual_access:  read_only
        .address_space:  global
        .offset:         88
        .size:           8
        .value_kind:     global_buffer
      - .actual_access:  write_only
        .address_space:  global
        .offset:         96
        .size:           8
        .value_kind:     global_buffer
    .group_segment_fixed_size: 0
    .kernarg_segment_align: 8
    .kernarg_segment_size: 104
    .language:       OpenCL C
    .language_version:
      - 2
      - 0
    .max_flat_workgroup_size: 120
    .name:           fft_rtc_fwd_len17_factors_17_wgs_120_tpt_1_sp_op_CI_CI_unitstride_sbrr_dirReg
    .private_segment_fixed_size: 0
    .sgpr_count:     52
    .sgpr_spill_count: 0
    .symbol:         fft_rtc_fwd_len17_factors_17_wgs_120_tpt_1_sp_op_CI_CI_unitstride_sbrr_dirReg.kd
    .uniform_work_group_size: 1
    .uses_dynamic_stack: false
    .vgpr_count:     266
    .vgpr_spill_count: 0
    .wavefront_size: 64
amdhsa.target:   amdgcn-amd-amdhsa--gfx950
amdhsa.version:
  - 1
  - 2
...

	.end_amdgpu_metadata
